;; amdgpu-corpus repo=ROCm/rocFFT kind=compiled arch=gfx906 opt=O3
	.text
	.amdgcn_target "amdgcn-amd-amdhsa--gfx906"
	.amdhsa_code_object_version 6
	.protected	fft_rtc_back_len121_factors_11_11_wgs_121_tpt_11_half_ip_CI_sbcc_twdbase5_3step_dirReg ; -- Begin function fft_rtc_back_len121_factors_11_11_wgs_121_tpt_11_half_ip_CI_sbcc_twdbase5_3step_dirReg
	.globl	fft_rtc_back_len121_factors_11_11_wgs_121_tpt_11_half_ip_CI_sbcc_twdbase5_3step_dirReg
	.p2align	8
	.type	fft_rtc_back_len121_factors_11_11_wgs_121_tpt_11_half_ip_CI_sbcc_twdbase5_3step_dirReg,@function
fft_rtc_back_len121_factors_11_11_wgs_121_tpt_11_half_ip_CI_sbcc_twdbase5_3step_dirReg: ; @fft_rtc_back_len121_factors_11_11_wgs_121_tpt_11_half_ip_CI_sbcc_twdbase5_3step_dirReg
; %bb.0:
	s_load_dwordx8 s[8:15], s[4:5], 0x8
	s_movk_i32 s0, 0x60
	v_cmp_gt_u32_e32 vcc, s0, v0
	s_and_saveexec_b64 s[0:1], vcc
	s_cbranch_execz .LBB0_2
; %bb.1:
	v_lshlrev_b32_e32 v1, 2, v0
	s_waitcnt lgkmcnt(0)
	global_load_dword v2, v1, s[8:9]
	v_add_u32_e32 v1, 0, v1
	s_waitcnt vmcnt(0)
	ds_write_b32 v1, v2 offset:5324
.LBB0_2:
	s_or_b64 exec, exec, s[0:1]
	s_waitcnt lgkmcnt(0)
	s_load_dwordx2 s[20:21], s[12:13], 0x8
	s_mov_b32 s7, 0
	s_mov_b64 s[24:25], 0
	s_waitcnt lgkmcnt(0)
	s_add_u32 s0, s20, -1
	s_addc_u32 s1, s21, -1
	s_add_u32 s2, 0, 0x5d161400
	s_addc_u32 s3, 0, 0x54
	s_mul_hi_u32 s9, s2, -11
	s_add_i32 s3, s3, 0x1745d120
	s_sub_i32 s9, s9, s2
	s_mul_i32 s18, s3, -11
	s_mul_i32 s8, s2, -11
	s_add_i32 s9, s9, s18
	s_mul_hi_u32 s16, s3, s8
	s_mul_i32 s17, s3, s8
	s_mul_i32 s19, s2, s9
	s_mul_hi_u32 s8, s2, s8
	s_mul_hi_u32 s18, s2, s9
	s_add_u32 s8, s8, s19
	s_addc_u32 s18, 0, s18
	s_add_u32 s8, s8, s17
	s_mul_hi_u32 s19, s3, s9
	s_addc_u32 s8, s18, s16
	s_addc_u32 s16, s19, 0
	s_mul_i32 s9, s3, s9
	s_add_u32 s8, s8, s9
	v_mov_b32_e32 v1, s8
	s_addc_u32 s9, 0, s16
	v_add_co_u32_e32 v1, vcc, s2, v1
	s_cmp_lg_u64 vcc, 0
	s_addc_u32 s2, s3, s9
	v_readfirstlane_b32 s9, v1
	s_mul_i32 s8, s0, s2
	s_mul_hi_u32 s16, s0, s9
	s_mul_hi_u32 s3, s0, s2
	s_add_u32 s8, s16, s8
	s_addc_u32 s3, 0, s3
	s_mul_hi_u32 s17, s1, s9
	s_mul_i32 s9, s1, s9
	s_add_u32 s8, s8, s9
	s_mul_hi_u32 s16, s1, s2
	s_addc_u32 s3, s3, s17
	s_addc_u32 s8, s16, 0
	s_mul_i32 s2, s1, s2
	s_add_u32 s2, s3, s2
	s_addc_u32 s3, 0, s8
	s_add_u32 s8, s2, 1
	s_addc_u32 s9, s3, 0
	s_add_u32 s16, s2, 2
	s_mul_i32 s18, s3, 11
	s_mul_hi_u32 s19, s2, 11
	s_addc_u32 s17, s3, 0
	s_add_i32 s19, s19, s18
	s_mul_i32 s18, s2, 11
	v_mov_b32_e32 v1, s18
	v_sub_co_u32_e32 v1, vcc, s0, v1
	s_cmp_lg_u64 vcc, 0
	s_subb_u32 s0, s1, s19
	v_subrev_co_u32_e32 v2, vcc, 11, v1
	s_cmp_lg_u64 vcc, 0
	s_subb_u32 s1, s0, 0
	v_readfirstlane_b32 s18, v2
	s_cmp_gt_u32 s18, 10
	s_cselect_b32 s18, -1, 0
	s_cmp_eq_u32 s1, 0
	s_cselect_b32 s1, s18, -1
	s_cmp_lg_u32 s1, 0
	s_cselect_b32 s1, s16, s8
	s_cselect_b32 s8, s17, s9
	v_readfirstlane_b32 s9, v1
	s_cmp_gt_u32 s9, 10
	s_cselect_b32 s9, -1, 0
	s_cmp_eq_u32 s0, 0
	s_cselect_b32 s0, s9, -1
	s_cmp_lg_u32 s0, 0
	s_cselect_b32 s1, s1, s2
	s_cselect_b32 s0, s8, s3
	s_add_u32 s22, s1, 1
	s_addc_u32 s23, s0, 0
	v_mov_b32_e32 v1, s22
	v_mov_b32_e32 v2, s23
	v_cmp_lt_u64_e32 vcc, s[6:7], v[1:2]
	s_cbranch_vccnz .LBB0_4
; %bb.3:
	v_cvt_f32_u32_e32 v1, s22
	s_sub_i32 s0, 0, s22
	s_mov_b32 s25, s7
	v_rcp_iflag_f32_e32 v1, v1
	v_mul_f32_e32 v1, 0x4f7ffffe, v1
	v_cvt_u32_f32_e32 v1, v1
	v_readfirstlane_b32 s1, v1
	s_mul_i32 s0, s0, s1
	s_mul_hi_u32 s0, s1, s0
	s_add_i32 s1, s1, s0
	s_mul_hi_u32 s0, s6, s1
	s_mul_i32 s2, s0, s22
	s_sub_i32 s2, s6, s2
	s_add_i32 s1, s0, 1
	s_sub_i32 s3, s2, s22
	s_cmp_ge_u32 s2, s22
	s_cselect_b32 s0, s1, s0
	s_cselect_b32 s2, s3, s2
	s_add_i32 s1, s0, 1
	s_cmp_ge_u32 s2, s22
	s_cselect_b32 s24, s1, s0
.LBB0_4:
	s_mul_i32 s0, s24, s23
	s_mul_hi_u32 s1, s24, s22
	s_load_dwordx2 s[2:3], s[4:5], 0x58
	s_load_dwordx2 s[8:9], s[4:5], 0x0
	s_load_dwordx4 s[16:19], s[14:15], 0x0
	s_add_i32 s1, s1, s0
	s_mul_i32 s0, s24, s22
	s_sub_u32 s36, s6, s0
	s_subb_u32 s0, 0, s1
	s_mul_i32 s0, s0, 11
	s_mul_hi_u32 s33, s36, 11
	s_add_i32 s33, s33, s0
	s_mul_i32 s36, s36, 11
	s_waitcnt lgkmcnt(0)
	s_mul_i32 s0, s18, s33
	s_mul_hi_u32 s1, s18, s36
	s_add_i32 s0, s1, s0
	s_mul_i32 s1, s19, s36
	s_add_i32 s37, s0, s1
	v_cmp_lt_u64_e64 s[0:1], s[10:11], 3
	s_mul_i32 s38, s18, s36
	s_and_b64 vcc, exec, s[0:1]
	s_cbranch_vccnz .LBB0_14
; %bb.5:
	s_add_u32 s4, s14, 16
	s_addc_u32 s5, s15, 0
	s_add_u32 s12, s12, 16
	v_mov_b32_e32 v1, s10
	s_addc_u32 s13, s13, 0
	s_mov_b64 s[26:27], 2
	s_mov_b32 s28, 0
	v_mov_b32_e32 v2, s11
.LBB0_6:                                ; =>This Inner Loop Header: Depth=1
	s_load_dwordx2 s[30:31], s[12:13], 0x0
	s_waitcnt lgkmcnt(0)
	s_or_b64 s[0:1], s[24:25], s[30:31]
	s_mov_b32 s29, s1
	s_cmp_lg_u64 s[28:29], 0
	s_cbranch_scc0 .LBB0_11
; %bb.7:                                ;   in Loop: Header=BB0_6 Depth=1
	v_cvt_f32_u32_e32 v3, s30
	v_cvt_f32_u32_e32 v4, s31
	s_sub_u32 s0, 0, s30
	s_subb_u32 s1, 0, s31
	v_mac_f32_e32 v3, 0x4f800000, v4
	v_rcp_f32_e32 v3, v3
	v_mul_f32_e32 v3, 0x5f7ffffc, v3
	v_mul_f32_e32 v4, 0x2f800000, v3
	v_trunc_f32_e32 v4, v4
	v_mac_f32_e32 v3, 0xcf800000, v4
	v_cvt_u32_f32_e32 v4, v4
	v_cvt_u32_f32_e32 v3, v3
	v_readfirstlane_b32 s29, v4
	v_readfirstlane_b32 s34, v3
	s_mul_i32 s35, s0, s29
	s_mul_hi_u32 s40, s0, s34
	s_mul_i32 s39, s1, s34
	s_add_i32 s35, s40, s35
	s_mul_i32 s41, s0, s34
	s_add_i32 s35, s35, s39
	s_mul_hi_u32 s39, s34, s35
	s_mul_i32 s40, s34, s35
	s_mul_hi_u32 s34, s34, s41
	s_add_u32 s34, s34, s40
	s_addc_u32 s39, 0, s39
	s_mul_hi_u32 s42, s29, s41
	s_mul_i32 s41, s29, s41
	s_add_u32 s34, s34, s41
	s_mul_hi_u32 s40, s29, s35
	s_addc_u32 s34, s39, s42
	s_addc_u32 s39, s40, 0
	s_mul_i32 s35, s29, s35
	s_add_u32 s34, s34, s35
	s_addc_u32 s35, 0, s39
	v_add_co_u32_e32 v3, vcc, s34, v3
	s_cmp_lg_u64 vcc, 0
	s_addc_u32 s29, s29, s35
	v_readfirstlane_b32 s35, v3
	s_mul_i32 s34, s0, s29
	s_mul_hi_u32 s39, s0, s35
	s_add_i32 s34, s39, s34
	s_mul_i32 s1, s1, s35
	s_add_i32 s34, s34, s1
	s_mul_i32 s0, s0, s35
	s_mul_hi_u32 s39, s29, s0
	s_mul_i32 s40, s29, s0
	s_mul_i32 s42, s35, s34
	s_mul_hi_u32 s0, s35, s0
	s_mul_hi_u32 s41, s35, s34
	s_add_u32 s0, s0, s42
	s_addc_u32 s35, 0, s41
	s_add_u32 s0, s0, s40
	s_mul_hi_u32 s1, s29, s34
	s_addc_u32 s0, s35, s39
	s_addc_u32 s1, s1, 0
	s_mul_i32 s34, s29, s34
	s_add_u32 s0, s0, s34
	s_addc_u32 s1, 0, s1
	v_add_co_u32_e32 v3, vcc, s0, v3
	s_cmp_lg_u64 vcc, 0
	s_addc_u32 s0, s29, s1
	v_readfirstlane_b32 s34, v3
	s_mul_i32 s29, s24, s0
	s_mul_hi_u32 s35, s24, s34
	s_mul_hi_u32 s1, s24, s0
	s_add_u32 s29, s35, s29
	s_addc_u32 s1, 0, s1
	s_mul_hi_u32 s39, s25, s34
	s_mul_i32 s34, s25, s34
	s_add_u32 s29, s29, s34
	s_mul_hi_u32 s35, s25, s0
	s_addc_u32 s1, s1, s39
	s_addc_u32 s29, s35, 0
	s_mul_i32 s0, s25, s0
	s_add_u32 s34, s1, s0
	s_addc_u32 s29, 0, s29
	s_mul_i32 s0, s30, s29
	s_mul_hi_u32 s1, s30, s34
	s_add_i32 s0, s1, s0
	s_mul_i32 s1, s31, s34
	s_add_i32 s35, s0, s1
	s_mul_i32 s1, s30, s34
	v_mov_b32_e32 v3, s1
	s_sub_i32 s0, s25, s35
	v_sub_co_u32_e32 v3, vcc, s24, v3
	s_cmp_lg_u64 vcc, 0
	s_subb_u32 s39, s0, s31
	v_subrev_co_u32_e64 v4, s[0:1], s30, v3
	s_cmp_lg_u64 s[0:1], 0
	s_subb_u32 s0, s39, 0
	s_cmp_ge_u32 s0, s31
	v_readfirstlane_b32 s39, v4
	s_cselect_b32 s1, -1, 0
	s_cmp_ge_u32 s39, s30
	s_cselect_b32 s39, -1, 0
	s_cmp_eq_u32 s0, s31
	s_cselect_b32 s0, s39, s1
	s_add_u32 s1, s34, 1
	s_addc_u32 s39, s29, 0
	s_add_u32 s40, s34, 2
	s_addc_u32 s41, s29, 0
	s_cmp_lg_u32 s0, 0
	s_cselect_b32 s0, s40, s1
	s_cselect_b32 s1, s41, s39
	s_cmp_lg_u64 vcc, 0
	s_subb_u32 s35, s25, s35
	s_cmp_ge_u32 s35, s31
	v_readfirstlane_b32 s40, v3
	s_cselect_b32 s39, -1, 0
	s_cmp_ge_u32 s40, s30
	s_cselect_b32 s40, -1, 0
	s_cmp_eq_u32 s35, s31
	s_cselect_b32 s35, s40, s39
	s_cmp_lg_u32 s35, 0
	s_cselect_b32 s1, s1, s29
	s_cselect_b32 s0, s0, s34
	s_cbranch_execnz .LBB0_9
.LBB0_8:                                ;   in Loop: Header=BB0_6 Depth=1
	v_cvt_f32_u32_e32 v3, s30
	s_sub_i32 s0, 0, s30
	v_rcp_iflag_f32_e32 v3, v3
	v_mul_f32_e32 v3, 0x4f7ffffe, v3
	v_cvt_u32_f32_e32 v3, v3
	v_readfirstlane_b32 s1, v3
	s_mul_i32 s0, s0, s1
	s_mul_hi_u32 s0, s1, s0
	s_add_i32 s1, s1, s0
	s_mul_hi_u32 s0, s24, s1
	s_mul_i32 s29, s0, s30
	s_sub_i32 s29, s24, s29
	s_add_i32 s1, s0, 1
	s_sub_i32 s34, s29, s30
	s_cmp_ge_u32 s29, s30
	s_cselect_b32 s0, s1, s0
	s_cselect_b32 s29, s34, s29
	s_add_i32 s1, s0, 1
	s_cmp_ge_u32 s29, s30
	s_cselect_b32 s0, s1, s0
	s_mov_b32 s1, s28
.LBB0_9:                                ;   in Loop: Header=BB0_6 Depth=1
	s_mul_i32 s23, s30, s23
	s_mul_hi_u32 s29, s30, s22
	s_add_i32 s23, s29, s23
	s_mul_i32 s29, s31, s22
	s_add_i32 s23, s23, s29
	s_mul_i32 s29, s0, s31
	s_mul_hi_u32 s31, s0, s30
	s_load_dwordx2 s[34:35], s[4:5], 0x0
	s_add_i32 s29, s31, s29
	s_mul_i32 s31, s1, s30
	s_mul_i32 s22, s30, s22
	s_add_i32 s29, s29, s31
	s_mul_i32 s30, s0, s30
	s_sub_u32 s24, s24, s30
	s_subb_u32 s25, s25, s29
	s_waitcnt lgkmcnt(0)
	s_mul_i32 s25, s34, s25
	s_mul_hi_u32 s29, s34, s24
	s_add_i32 s25, s29, s25
	s_mul_i32 s29, s35, s24
	s_add_i32 s25, s25, s29
	s_mul_i32 s24, s34, s24
	s_add_u32 s38, s24, s38
	s_addc_u32 s37, s25, s37
	s_add_u32 s26, s26, 1
	s_addc_u32 s27, s27, 0
	;; [unrolled: 2-line block ×3, first 2 shown]
	v_cmp_ge_u64_e32 vcc, s[26:27], v[1:2]
	s_add_u32 s12, s12, 8
	s_addc_u32 s13, s13, 0
	s_cbranch_vccnz .LBB0_12
; %bb.10:                               ;   in Loop: Header=BB0_6 Depth=1
	s_mov_b64 s[24:25], s[0:1]
	s_branch .LBB0_6
.LBB0_11:                               ;   in Loop: Header=BB0_6 Depth=1
                                        ; implicit-def: $sgpr0_sgpr1
	s_branch .LBB0_8
.LBB0_12:
	v_mov_b32_e32 v1, s22
	v_mov_b32_e32 v2, s23
	v_cmp_lt_u64_e32 vcc, s[6:7], v[1:2]
	s_mov_b64 s[24:25], 0
	s_cbranch_vccnz .LBB0_14
; %bb.13:
	v_cvt_f32_u32_e32 v1, s22
	s_sub_i32 s0, 0, s22
	v_rcp_iflag_f32_e32 v1, v1
	v_mul_f32_e32 v1, 0x4f7ffffe, v1
	v_cvt_u32_f32_e32 v1, v1
	v_readfirstlane_b32 s1, v1
	s_mul_i32 s0, s0, s1
	s_mul_hi_u32 s0, s1, s0
	s_add_i32 s1, s1, s0
	s_mul_hi_u32 s0, s6, s1
	s_mul_i32 s4, s0, s22
	s_sub_i32 s4, s6, s4
	s_add_i32 s1, s0, 1
	s_sub_i32 s5, s4, s22
	s_cmp_ge_u32 s4, s22
	s_cselect_b32 s0, s1, s0
	s_cselect_b32 s4, s5, s4
	s_add_i32 s1, s0, 1
	s_cmp_ge_u32 s4, s22
	s_cselect_b32 s24, s1, s0
.LBB0_14:
	s_lshl_b64 s[0:1], s[10:11], 3
	s_add_u32 s0, s14, s0
	s_addc_u32 s1, s15, s1
	s_load_dwordx2 s[0:1], s[0:1], 0x0
	s_mov_b32 s4, 0x1745d175
	v_mul_hi_u32 v11, v0, s4
                                        ; implicit-def: $vgpr18
                                        ; implicit-def: $vgpr17
                                        ; implicit-def: $vgpr23
                                        ; implicit-def: $vgpr22
                                        ; implicit-def: $vgpr19
                                        ; implicit-def: $vgpr13
                                        ; implicit-def: $vgpr12
                                        ; implicit-def: $vgpr8
                                        ; implicit-def: $vgpr7
                                        ; implicit-def: $vgpr4
                                        ; implicit-def: $vgpr3
                                        ; implicit-def: $vgpr25
                                        ; implicit-def: $vgpr24
                                        ; implicit-def: $vgpr21
                                        ; implicit-def: $vgpr20
                                        ; implicit-def: $vgpr16
                                        ; implicit-def: $vgpr15
                                        ; implicit-def: $vgpr6
                                        ; implicit-def: $vgpr5
	s_waitcnt lgkmcnt(0)
	s_mul_i32 s1, s1, s24
	s_mul_hi_u32 s4, s0, s24
	s_mul_i32 s0, s0, s24
	s_add_i32 s1, s4, s1
	v_mul_u32_u24_e32 v1, 11, v11
	s_add_u32 s4, s0, s38
	v_sub_u32_e32 v14, v0, v1
	s_addc_u32 s5, s1, s37
	v_mov_b32_e32 v1, s33
	v_add_co_u32_e32 v9, vcc, s36, v14
	v_addc_co_u32_e32 v10, vcc, 0, v1, vcc
	s_add_u32 s0, s36, 11
	v_mov_b32_e32 v1, s20
	s_addc_u32 s1, s33, 0
	v_mov_b32_e32 v2, s21
	v_cmp_le_u64_e32 vcc, s[0:1], v[1:2]
	v_cmp_gt_u64_e64 s[0:1], s[20:21], v[9:10]
                                        ; implicit-def: $vgpr1
                                        ; implicit-def: $vgpr10
                                        ; implicit-def: $vgpr2
	s_or_b64 s[0:1], vcc, s[0:1]
	s_and_saveexec_b64 s[6:7], s[0:1]
	s_cbranch_execz .LBB0_16
; %bb.15:
	v_mad_u64_u32 v[1:2], s[10:11], s18, v14, 0
	v_mad_u64_u32 v[3:4], s[10:11], s16, v11, 0
	v_add_u32_e32 v8, 11, v11
	v_mad_u64_u32 v[5:6], s[10:11], s19, v14, v[2:3]
	v_mov_b32_e32 v2, v4
	v_mad_u64_u32 v[6:7], s[10:11], s17, v11, v[2:3]
	s_lshl_b64 s[10:11], s[4:5], 2
	s_add_u32 s12, s2, s10
	s_addc_u32 s10, s3, s11
	v_mov_b32_e32 v2, v5
	v_mov_b32_e32 v4, v6
	;; [unrolled: 1-line block ×3, first 2 shown]
	v_mad_u64_u32 v[5:6], s[10:11], s16, v8, 0
	v_lshlrev_b64 v[1:2], 2, v[1:2]
	v_add_co_u32_e32 v10, vcc, s12, v1
	v_addc_co_u32_e32 v12, vcc, v7, v2, vcc
	v_lshlrev_b64 v[1:2], 2, v[3:4]
	v_mov_b32_e32 v3, v6
	v_mad_u64_u32 v[3:4], s[10:11], s17, v8, v[3:4]
	v_add_u32_e32 v4, 22, v11
	v_mad_u64_u32 v[7:8], s[10:11], s16, v4, 0
	v_add_co_u32_e32 v15, vcc, v10, v1
	v_mov_b32_e32 v6, v3
	v_mov_b32_e32 v3, v8
	v_addc_co_u32_e32 v16, vcc, v12, v2, vcc
	v_lshlrev_b64 v[1:2], 2, v[5:6]
	v_mad_u64_u32 v[3:4], s[10:11], s17, v4, v[3:4]
	v_add_u32_e32 v6, 33, v11
	v_mad_u64_u32 v[4:5], s[10:11], s16, v6, 0
	v_add_co_u32_e32 v18, vcc, v10, v1
	v_mov_b32_e32 v8, v3
	v_mov_b32_e32 v3, v5
	v_addc_co_u32_e32 v19, vcc, v12, v2, vcc
	v_lshlrev_b64 v[1:2], 2, v[7:8]
	v_mad_u64_u32 v[5:6], s[10:11], s17, v6, v[3:4]
	v_add_u32_e32 v8, 44, v11
	v_mad_u64_u32 v[6:7], s[10:11], s16, v8, 0
	v_add_co_u32_e32 v20, vcc, v10, v1
	v_mov_b32_e32 v3, v7
	v_addc_co_u32_e32 v21, vcc, v12, v2, vcc
	v_lshlrev_b64 v[1:2], 2, v[4:5]
	v_mad_u64_u32 v[3:4], s[10:11], s17, v8, v[3:4]
	v_add_u32_e32 v8, 55, v11
	v_mad_u64_u32 v[4:5], s[10:11], s16, v8, 0
	v_add_co_u32_e32 v23, vcc, v10, v1
	v_mov_b32_e32 v7, v3
	v_mov_b32_e32 v3, v5
	v_addc_co_u32_e32 v24, vcc, v12, v2, vcc
	v_lshlrev_b64 v[1:2], 2, v[6:7]
	v_mad_u64_u32 v[5:6], s[10:11], s17, v8, v[3:4]
	v_add_u32_e32 v8, 0x42, v11
	v_mad_u64_u32 v[6:7], s[10:11], s16, v8, 0
	v_add_co_u32_e32 v25, vcc, v10, v1
	;; [unrolled: 15-line block ×3, first 2 shown]
	v_addc_co_u32_e32 v30, vcc, v12, v2, vcc
	v_lshlrev_b64 v[1:2], 2, v[4:5]
	v_add_u32_e32 v5, 0x63, v11
	v_add_co_u32_e32 v33, vcc, v10, v1
	v_mov_b32_e32 v1, v32
	v_mad_u64_u32 v[3:4], s[10:11], s17, v3, v[1:2]
	v_addc_co_u32_e32 v34, vcc, v12, v2, vcc
	global_load_dword v17, v[15:16], off
	global_load_dword v22, v[18:19], off
	;; [unrolled: 1-line block ×8, first 2 shown]
	v_mad_u64_u32 v[35:36], s[10:11], s16, v5, 0
	v_mov_b32_e32 v32, v3
	v_lshlrev_b64 v[15:16], 2, v[31:32]
	v_mov_b32_e32 v3, v36
	v_add_co_u32_e32 v25, vcc, v10, v15
	v_addc_co_u32_e32 v26, vcc, v12, v16, vcc
	s_waitcnt vmcnt(6)
	v_lshrrev_b32_e32 v23, 16, v22
	s_waitcnt vmcnt(3)
	v_mad_u64_u32 v[18:19], s[10:11], s17, v5, v[3:4]
	v_add_u32_e32 v5, 0x6e, v11
	v_mad_u64_u32 v[19:20], s[10:11], s16, v5, 0
	v_mov_b32_e32 v36, v18
	v_lshlrev_b64 v[15:16], 2, v[35:36]
	v_mov_b32_e32 v3, v20
	v_mad_u64_u32 v[20:21], s[10:11], s17, v5, v[3:4]
	v_add_co_u32_e32 v27, vcc, v10, v15
	v_addc_co_u32_e32 v28, vcc, v12, v16, vcc
	v_lshlrev_b64 v[15:16], 2, v[19:20]
	v_lshrrev_b32_e32 v7, 16, v4
	v_add_co_u32_e32 v18, vcc, v10, v15
	v_addc_co_u32_e32 v19, vcc, v12, v16, vcc
	global_load_dword v15, v[25:26], off
	global_load_dword v20, v[27:28], off
	;; [unrolled: 1-line block ×3, first 2 shown]
	v_lshrrev_b32_e32 v18, 16, v17
	v_lshrrev_b32_e32 v19, 16, v13
	;; [unrolled: 1-line block ×3, first 2 shown]
	s_waitcnt vmcnt(5)
	v_lshrrev_b32_e32 v3, 16, v1
	s_waitcnt vmcnt(4)
	v_lshrrev_b32_e32 v5, 16, v2
	;; [unrolled: 2-line block ×6, first 2 shown]
.LBB0_16:
	s_or_b64 exec, exec, s[6:7]
	v_add_f16_e32 v26, v17, v22
	v_add_f16_e32 v27, v18, v23
	v_add_f16_e32 v26, v26, v13
	v_add_f16_e32 v27, v27, v19
	v_add_f16_e32 v26, v26, v8
	v_add_f16_e32 v27, v27, v12
	v_add_f16_e32 v26, v26, v4
	v_add_f16_e32 v27, v27, v7
	v_add_f16_e32 v26, v26, v1
	v_add_f16_e32 v27, v27, v3
	v_add_f16_e32 v26, v26, v2
	v_add_f16_e32 v27, v27, v5
	v_add_f16_e32 v26, v6, v26
	v_add_f16_e32 v27, v10, v27
	v_add_f16_e32 v26, v15, v26
	v_add_f16_e32 v27, v16, v27
	v_add_f16_e32 v26, v20, v26
	v_add_f16_e32 v27, v21, v27
	v_add_f16_e32 v26, v24, v26
	v_add_f16_sdwa v27, v25, v27 dst_sel:WORD_1 dst_unused:UNUSED_PAD src0_sel:DWORD src1_sel:DWORD
	v_add_f16_e32 v28, v23, v25
	v_sub_f16_e32 v23, v23, v25
	v_or_b32_e32 v26, v27, v26
	v_add_f16_e32 v27, v22, v24
	v_sub_f16_e32 v22, v22, v24
	v_mul_f16_e32 v24, 0xb853, v23
	s_movk_i32 s6, 0x3abb
	v_mul_f16_e32 v29, 0xbb47, v23
	s_movk_i32 s7, 0x36a6
	s_mov_b32 s10, 0xb08e
	v_mul_f16_e32 v31, 0xbbeb, v23
	s_mov_b32 s11, 0xb93d
	v_mul_f16_e32 v33, 0xba0c, v23
	v_mul_f16_e32 v23, 0xb482, v23
	s_mov_b32 s12, 0xbbad
	v_fma_f16 v25, v27, s6, v24
	v_fma_f16 v24, v27, s6, -v24
	v_fma_f16 v30, v27, s7, v29
	v_fma_f16 v29, v27, s7, -v29
	;; [unrolled: 2-line block ×5, first 2 shown]
	v_add_f16_e32 v25, v17, v25
	v_add_f16_e32 v24, v17, v24
	;; [unrolled: 1-line block ×10, first 2 shown]
	v_mul_f16_e32 v23, 0xb853, v22
	v_mul_f16_e32 v36, 0xbb47, v22
	;; [unrolled: 1-line block ×5, first 2 shown]
	v_fma_f16 v35, v28, s6, -v23
	v_fma_f16 v23, v28, s6, v23
	v_fma_f16 v37, v28, s7, -v36
	v_fma_f16 v36, v28, s7, v36
	;; [unrolled: 2-line block ×5, first 2 shown]
	v_add_f16_e32 v28, v18, v35
	v_add_f16_e32 v23, v18, v23
	;; [unrolled: 1-line block ×11, first 2 shown]
	v_sub_f16_e32 v13, v13, v20
	v_add_f16_e32 v20, v19, v21
	v_sub_f16_e32 v19, v19, v21
	v_mul_f16_e32 v21, 0xbb47, v19
	v_fma_f16 v42, v22, s7, v21
	v_add_f16_e32 v25, v25, v42
	v_mul_f16_e32 v42, 0xbb47, v13
	v_fma_f16 v21, v22, s7, -v21
	v_add_f16_e32 v21, v24, v21
	v_fma_f16 v24, v20, s7, v42
	v_add_f16_e32 v23, v23, v24
	v_mul_f16_e32 v24, 0xba0c, v19
	v_fma_f16 v43, v20, s7, -v42
	v_fma_f16 v42, v22, s11, v24
	v_add_f16_e32 v27, v27, v42
	v_mul_f16_e32 v42, 0xba0c, v13
	v_fma_f16 v24, v22, s11, -v24
	v_add_f16_e32 v24, v29, v24
	v_fma_f16 v29, v20, s11, v42
	v_add_f16_e32 v29, v36, v29
	v_mul_f16_e32 v36, 0x3482, v19
	v_add_f16_e32 v28, v28, v43
	v_fma_f16 v43, v20, s11, -v42
	v_fma_f16 v42, v22, s12, v36
	v_add_f16_e32 v30, v30, v42
	v_mul_f16_e32 v42, 0x3482, v13
	v_fma_f16 v36, v22, s12, -v36
	v_add_f16_e32 v31, v31, v36
	v_fma_f16 v36, v20, s12, v42
	v_add_f16_e32 v36, v38, v36
	v_mul_f16_e32 v38, 0x3beb, v19
	v_add_f16_e32 v35, v35, v43
	v_fma_f16 v43, v20, s12, -v42
	v_fma_f16 v42, v22, s10, v38
	v_add_f16_e32 v32, v32, v42
	v_mul_f16_e32 v42, 0x3beb, v13
	v_fma_f16 v38, v22, s10, -v38
	v_add_f16_e32 v33, v33, v38
	v_fma_f16 v38, v20, s10, v42
	v_mul_f16_e32 v19, 0x3853, v19
	v_add_f16_e32 v38, v40, v38
	v_fma_f16 v40, v22, s6, v19
	v_mul_f16_e32 v13, 0x3853, v13
	v_add_f16_e32 v34, v34, v40
	v_fma_f16 v40, v20, s6, -v13
	v_fma_f16 v13, v20, s6, v13
	v_add_f16_e32 v13, v18, v13
	v_add_f16_e32 v18, v8, v15
	v_sub_f16_e32 v8, v8, v15
	v_add_f16_e32 v15, v12, v16
	v_sub_f16_e32 v12, v12, v16
	v_fma_f16 v19, v22, s6, -v19
	v_mul_f16_e32 v16, 0xbbeb, v12
	v_add_f16_e32 v37, v37, v43
	v_fma_f16 v43, v20, s10, -v42
	v_add_f16_e32 v17, v17, v19
	v_fma_f16 v19, v18, s10, v16
	v_mul_f16_e32 v20, 0xbbeb, v8
	v_fma_f16 v16, v18, s10, -v16
	v_fma_f16 v22, v15, s10, -v20
	v_add_f16_e32 v16, v21, v16
	v_fma_f16 v20, v15, s10, v20
	v_mul_f16_e32 v21, 0x3482, v12
	v_add_f16_e32 v19, v25, v19
	v_add_f16_e32 v20, v23, v20
	v_fma_f16 v23, v18, s12, v21
	v_mul_f16_e32 v25, 0x3482, v8
	v_fma_f16 v21, v18, s12, -v21
	v_add_f16_e32 v23, v27, v23
	v_fma_f16 v27, v15, s12, -v25
	v_add_f16_e32 v21, v24, v21
	v_fma_f16 v24, v15, s12, v25
	v_mul_f16_e32 v25, 0x3b47, v12
	v_add_f16_e32 v22, v28, v22
	v_fma_f16 v28, v18, s7, v25
	v_fma_f16 v25, v18, s7, -v25
	v_add_f16_e32 v25, v31, v25
	v_mul_f16_e32 v31, 0xb853, v12
	v_add_f16_e32 v27, v35, v27
	v_add_f16_e32 v24, v29, v24
	v_mul_f16_e32 v29, 0x3b47, v8
	v_fma_f16 v35, v18, s6, v31
	v_add_f16_e32 v28, v30, v28
	v_fma_f16 v30, v15, s7, -v29
	v_fma_f16 v29, v15, s7, v29
	v_add_f16_e32 v32, v32, v35
	v_mul_f16_e32 v35, 0xb853, v8
	v_fma_f16 v31, v18, s6, -v31
	v_mul_f16_e32 v12, 0xba0c, v12
	v_add_f16_e32 v29, v36, v29
	v_fma_f16 v36, v15, s6, -v35
	v_add_f16_e32 v31, v33, v31
	v_fma_f16 v33, v15, s6, v35
	v_fma_f16 v35, v18, s11, v12
	v_mul_f16_e32 v8, 0xba0c, v8
	v_add_f16_e32 v34, v34, v35
	v_fma_f16 v35, v15, s11, -v8
	v_fma_f16 v8, v15, s11, v8
	v_add_f16_e32 v8, v13, v8
	v_add_f16_e32 v13, v4, v6
	v_sub_f16_e32 v4, v4, v6
	v_add_f16_e32 v6, v7, v10
	v_sub_f16_e32 v7, v7, v10
	v_fma_f16 v12, v18, s11, -v12
	v_mul_f16_e32 v10, 0xba0c, v7
	v_add_f16_e32 v12, v17, v12
	v_fma_f16 v15, v13, s11, v10
	v_mul_f16_e32 v17, 0xba0c, v4
	v_fma_f16 v10, v13, s11, -v10
	v_fma_f16 v18, v6, s11, -v17
	v_add_f16_e32 v10, v16, v10
	v_fma_f16 v16, v6, s11, v17
	v_mul_f16_e32 v17, 0x3beb, v7
	v_add_f16_e32 v15, v19, v15
	v_add_f16_e32 v16, v20, v16
	v_fma_f16 v19, v13, s10, v17
	v_mul_f16_e32 v20, 0x3beb, v4
	v_fma_f16 v17, v13, s10, -v17
	v_add_f16_e32 v18, v22, v18
	v_fma_f16 v22, v6, s10, -v20
	v_add_f16_e32 v17, v21, v17
	v_fma_f16 v20, v6, s10, v20
	v_mul_f16_e32 v21, 0xb853, v7
	v_add_f16_e32 v19, v23, v19
	v_add_f16_e32 v20, v24, v20
	v_fma_f16 v23, v13, s6, v21
	v_mul_f16_e32 v24, 0xb853, v4
	v_fma_f16 v21, v13, s6, -v21
	v_add_f16_e32 v22, v27, v22
	v_fma_f16 v27, v6, s6, -v24
	v_add_f16_e32 v21, v25, v21
	v_fma_f16 v24, v6, s6, v24
	v_mul_f16_e32 v25, 0xb482, v7
	v_add_f16_e32 v30, v37, v30
	v_add_f16_e32 v23, v28, v23
	;; [unrolled: 1-line block ×3, first 2 shown]
	v_fma_f16 v28, v13, s12, v25
	v_mul_f16_e32 v29, 0xb482, v4
	v_mul_f16_e32 v4, 0x3b47, v4
	v_add_f16_e32 v27, v30, v27
	v_add_f16_e32 v28, v32, v28
	v_fma_f16 v30, v6, s12, -v29
	v_fma_f16 v25, v13, s12, -v25
	v_fma_f16 v29, v6, s12, v29
	v_mul_f16_e32 v7, 0x3b47, v7
	v_fma_f16 v32, v6, s7, -v4
	v_fma_f16 v4, v6, s7, v4
	v_add_f16_e32 v6, v1, v2
	v_sub_f16_e32 v1, v1, v2
	v_add_f16_e32 v2, v3, v5
	v_sub_f16_e32 v3, v3, v5
	v_add_f16_e32 v25, v31, v25
	v_fma_f16 v31, v13, s7, v7
	v_fma_f16 v7, v13, s7, -v7
	v_mul_f16_e32 v5, 0xb482, v3
	v_add_f16_e32 v7, v12, v7
	v_add_f16_e32 v4, v8, v4
	v_fma_f16 v8, v6, s12, v5
	v_mul_f16_e32 v12, 0xb482, v1
	v_fma_f16 v5, v6, s12, -v5
	v_add_f16_e32 v5, v10, v5
	v_fma_f16 v10, v2, s12, v12
	v_fma_f16 v13, v2, s12, -v12
	v_add_f16_e32 v12, v16, v10
	v_mul_f16_e32 v10, 0x3853, v3
	v_add_f16_e32 v8, v15, v8
	v_fma_f16 v15, v6, s6, v10
	v_mul_f16_e32 v16, 0x3853, v1
	v_fma_f16 v10, v6, s6, -v10
	v_add_f16_e32 v17, v17, v10
	v_fma_f16 v10, v2, s6, v16
	v_add_f16_e32 v13, v18, v13
	v_fma_f16 v18, v2, s6, -v16
	v_add_f16_e32 v16, v20, v10
	v_mul_f16_e32 v10, 0xba0c, v3
	v_add_f16_e32 v15, v19, v15
	v_fma_f16 v19, v6, s11, v10
	v_mul_f16_e32 v20, 0xba0c, v1
	v_fma_f16 v10, v6, s11, -v10
	v_add_f16_e32 v21, v21, v10
	v_fma_f16 v10, v2, s11, v20
	v_add_f16_e32 v18, v22, v18
	v_fma_f16 v22, v2, s11, -v20
	v_add_f16_e32 v20, v24, v10
	v_mul_f16_e32 v10, 0x3b47, v3
	v_add_f16_e32 v33, v38, v33
	v_add_f16_e32 v19, v23, v19
	v_fma_f16 v23, v6, s7, v10
	v_mul_f16_e32 v24, 0x3b47, v1
	v_fma_f16 v10, v6, s7, -v10
	v_add_f16_e32 v40, v41, v40
	v_add_f16_e32 v29, v33, v29
	v_add_f16_e32 v25, v25, v10
	v_fma_f16 v10, v2, s7, v24
	v_mul_f16_e32 v3, 0xbbeb, v3
	v_add_f16_e32 v35, v40, v35
	v_add_f16_e32 v31, v34, v31
	;; [unrolled: 1-line block ×3, first 2 shown]
	v_fma_f16 v27, v2, s7, -v24
	v_add_f16_e32 v24, v29, v10
	v_fma_f16 v10, v6, s10, v3
	v_mul_f16_e32 v1, 0xbbeb, v1
	v_add_f16_e32 v39, v39, v43
	v_add_f16_e32 v32, v35, v32
	;; [unrolled: 1-line block ×4, first 2 shown]
	v_fma_f16 v10, v2, s10, -v1
	v_fma_f16 v3, v6, s10, -v3
	v_fma_f16 v1, v2, s10, v1
	s_movk_i32 s13, 0x1e4
	v_add_f16_e32 v36, v39, v36
	v_add_f16_e32 v29, v32, v10
	;; [unrolled: 1-line block ×4, first 2 shown]
	v_mad_u32_u24 v10, v11, s13, 0
	v_add_f16_e32 v30, v36, v30
	v_lshl_add_u32 v2, v14, 2, v10
	v_pack_b32_f16 v4, v8, v13
	v_pack_b32_f16 v1, v3, v1
	v_pack_b32_f16 v3, v25, v24
	v_add_f16_e32 v27, v30, v27
	ds_write2_b32 v2, v26, v4 offset1:11
	v_pack_b32_f16 v4, v15, v18
	v_pack_b32_f16 v6, v19, v22
	ds_write2_b32 v2, v1, v3 offset0:66 offset1:77
	v_pack_b32_f16 v1, v21, v20
	v_pack_b32_f16 v3, v17, v16
	ds_write2_b32 v2, v4, v6 offset0:22 offset1:33
	v_pack_b32_f16 v4, v23, v27
	v_pack_b32_f16 v6, v28, v29
	ds_write2_b32 v2, v1, v3 offset0:88 offset1:99
	v_pack_b32_f16 v1, v5, v12
	ds_write2_b32 v2, v4, v6 offset0:44 offset1:55
	ds_write_b32 v2, v1 offset:440
	s_waitcnt lgkmcnt(0)
	s_barrier
	s_and_saveexec_b64 s[14:15], s[0:1]
	s_cbranch_execz .LBB0_18
; %bb.17:
	s_mov_b32 s0, 0x1745d175
	v_mul_hi_u32 v1, v11, s0
	v_lshlrev_b32_e32 v17, 2, v14
	s_add_i32 s0, 0, 0x14cc
	v_mul_u32_u24_e32 v1, 11, v1
	v_sub_u32_e32 v15, v11, v1
	v_mul_u32_u24_e32 v1, 10, v15
	v_lshlrev_b32_e32 v16, 2, v1
	global_load_dwordx4 v[1:4], v16, s[8:9] offset:16
	global_load_dwordx4 v[5:8], v16, s[8:9]
	global_load_dwordx2 v[12:13], v16, s[8:9] offset:32
	v_mul_i32_i24_e32 v11, 0xfffffe48, v11
	v_add3_u32 v33, v10, v11, v17
	v_add_u32_e32 v17, 0x600, v33
	v_add_u32_e32 v18, 0xa00, v33
	;; [unrolled: 1-line block ×4, first 2 shown]
	ds_read2_b32 v[10:11], v33 offset1:121
	ds_read2_b32 v[21:22], v17 offset0:100 offset1:221
	ds_read2_b32 v[17:18], v18 offset0:86 offset1:207
	;; [unrolled: 1-line block ×4, first 2 shown]
	v_add_u32_e32 v19, 0x6e, v15
	v_mul_lo_u32 v16, v9, -11
	v_mul_lo_u32 v19, v19, v9
	s_waitcnt lgkmcnt(2)
	v_lshrrev_b32_e32 v23, 16, v17
	v_lshrrev_b32_e32 v34, 16, v11
	;; [unrolled: 1-line block ×4, first 2 shown]
	v_and_b32_e32 v27, 31, v19
	v_lshrrev_b32_e32 v28, 3, v19
	v_add_u32_e32 v19, v19, v16
	v_and_b32_e32 v26, 0x7c, v26
	v_lshl_add_u32 v39, v27, 2, 0
	v_and_b32_e32 v27, 0x7c, v28
	v_lshrrev_b32_e32 v28, 8, v19
	v_lshrrev_b32_e32 v41, 3, v19
	v_and_b32_e32 v40, 31, v19
	v_add_u32_e32 v52, v19, v16
	v_add_u32_e32 v42, s0, v26
	v_and_b32_e32 v19, 0x7c, v28
	v_and_b32_e32 v26, 0x7c, v41
	v_lshrrev_b32_e32 v41, 8, v52
	v_add_u32_e32 v44, s0, v19
	v_add_u32_e32 v45, s0, v26
	s_waitcnt lgkmcnt(1)
	v_lshrrev_b32_e32 v36, 16, v30
	s_waitcnt lgkmcnt(0)
	v_lshrrev_b32_e32 v25, 16, v31
	v_lshrrev_b32_e32 v37, 16, v29
	v_add_u32_e32 v43, s0, v27
	v_lshl_add_u32 v40, v40, 2, 0
	v_lshrrev_b32_e32 v20, 16, v22
	v_lshrrev_b32_e32 v35, 16, v21
	;; [unrolled: 1-line block ×3, first 2 shown]
	v_mul_lo_u32 v9, v15, v9
	s_waitcnt vmcnt(2)
	v_mul_f16_sdwa v19, v23, v2 dst_sel:DWORD dst_unused:UNUSED_PAD src0_sel:DWORD src1_sel:WORD_1
	v_mul_f16_sdwa v26, v17, v2 dst_sel:DWORD dst_unused:UNUSED_PAD src0_sel:DWORD src1_sel:WORD_1
	v_fma_f16 v17, v17, v2, v19
	v_fma_f16 v26, v23, v2, -v26
	v_and_b32_e32 v2, 0x7c, v41
	v_mul_f16_sdwa v27, v24, v3 dst_sel:DWORD dst_unused:UNUSED_PAD src0_sel:DWORD src1_sel:WORD_1
	v_mul_f16_sdwa v46, v18, v3 dst_sel:DWORD dst_unused:UNUSED_PAD src0_sel:DWORD src1_sel:WORD_1
	;; [unrolled: 1-line block ×4, first 2 shown]
	s_waitcnt vmcnt(1)
	v_mul_f16_sdwa v53, v7, v36 dst_sel:DWORD dst_unused:UNUSED_PAD src0_sel:WORD_1 src1_sel:DWORD
	v_mul_f16_sdwa v54, v7, v30 dst_sel:DWORD dst_unused:UNUSED_PAD src0_sel:WORD_1 src1_sel:DWORD
	;; [unrolled: 1-line block ×6, first 2 shown]
	v_add_u32_e32 v2, s0, v2
	v_fma_f16 v18, v18, v3, v27
	v_fma_f16 v27, v24, v3, -v46
	v_fma_f16 v25, v25, v4, -v48
	v_fma_f16 v19, v31, v4, v49
	v_fma_f16 v23, v7, v30, v53
	;; [unrolled: 1-line block ×3, first 2 shown]
	v_fma_f16 v29, v7, v36, -v54
	v_fma_f16 v30, v6, v37, -v56
	v_fma_f16 v6, v5, v11, v59
	v_fma_f16 v11, v5, v34, -v60
	ds_read_b32 v3, v33 offset:4840
	ds_read_b32 v4, v42 offset:256
	;; [unrolled: 1-line block ×8, first 2 shown]
	s_waitcnt lgkmcnt(7)
	v_lshrrev_b32_e32 v2, 16, v3
	s_waitcnt vmcnt(0)
	v_mul_f16_sdwa v5, v2, v13 dst_sel:DWORD dst_unused:UNUSED_PAD src0_sel:DWORD src1_sel:WORD_1
	v_mul_f16_sdwa v28, v1, v22 dst_sel:DWORD dst_unused:UNUSED_PAD src0_sel:WORD_1 src1_sel:DWORD
	v_mul_f16_sdwa v47, v20, v1 dst_sel:DWORD dst_unused:UNUSED_PAD src0_sel:DWORD src1_sel:WORD_1
	v_mul_f16_sdwa v50, v8, v35 dst_sel:DWORD dst_unused:UNUSED_PAD src0_sel:WORD_1 src1_sel:DWORD
	v_mul_f16_sdwa v57, v38, v12 dst_sel:DWORD dst_unused:UNUSED_PAD src0_sel:DWORD src1_sel:WORD_1
	v_mul_f16_sdwa v58, v32, v12 dst_sel:DWORD dst_unused:UNUSED_PAD src0_sel:DWORD src1_sel:WORD_1
	v_fma_f16 v5, v3, v13, v5
	v_mul_f16_sdwa v3, v3, v13 dst_sel:DWORD dst_unused:UNUSED_PAD src0_sel:DWORD src1_sel:WORD_1
	v_mul_f16_sdwa v51, v8, v21 dst_sel:DWORD dst_unused:UNUSED_PAD src0_sel:WORD_1 src1_sel:DWORD
	v_fma_f16 v28, v20, v1, -v28
	v_fma_f16 v20, v1, v22, v47
	v_fma_f16 v22, v8, v21, v50
	;; [unrolled: 1-line block ×3, first 2 shown]
	v_fma_f16 v7, v38, v12, -v58
	v_fma_f16 v12, v2, v13, -v3
	s_waitcnt lgkmcnt(5)
	v_lshrrev_b32_e32 v2, 16, v33
	s_waitcnt lgkmcnt(4)
	v_mul_f16_sdwa v13, v33, v34 dst_sel:DWORD dst_unused:UNUSED_PAD src0_sel:DWORD src1_sel:WORD_1
	v_mul_f16_sdwa v3, v2, v34 dst_sel:DWORD dst_unused:UNUSED_PAD src0_sel:DWORD src1_sel:WORD_1
	v_fma_f16 v2, v2, v34, v13
	v_sub_f16_e32 v76, v6, v5
	v_fma_f16 v3, v33, v34, -v3
	v_mul_f16_sdwa v33, v2, v4 dst_sel:DWORD dst_unused:UNUSED_PAD src0_sel:DWORD src1_sel:WORD_1
	v_sub_f16_e32 v65, v24, v21
	v_mul_f16_e32 v13, 0xb853, v76
	v_fma_f16 v34, v4, v3, -v33
	v_mul_f16_sdwa v3, v3, v4 dst_sel:DWORD dst_unused:UNUSED_PAD src0_sel:DWORD src1_sel:WORD_1
	v_add_f16_e32 v33, v11, v12
	v_sub_f16_e32 v64, v23, v19
	v_add_f16_e32 v31, v30, v7
	v_mul_f16_e32 v32, 0xbb47, v65
	v_fma_f16 v2, v4, v2, v3
	v_fma_f16 v3, v33, s6, v13
	v_fma_f16 v8, v8, v35, -v51
	v_fma_f16 v1, v31, s7, v32
	v_add_f16_sdwa v3, v3, v10 dst_sel:DWORD dst_unused:UNUSED_PAD src0_sel:DWORD src1_sel:WORD_1
	v_mul_f16_e32 v35, 0xbbeb, v64
	v_add_f16_e32 v36, v29, v25
	v_sub_f16_e32 v77, v22, v18
	v_add_f16_e32 v1, v1, v3
	v_fma_f16 v3, v36, s10, v35
	v_mul_f16_e32 v40, 0xba0c, v77
	v_add_f16_e32 v41, v8, v27
	v_sub_f16_e32 v78, v20, v17
	v_add_f16_e32 v1, v3, v1
	v_fma_f16 v3, v41, s11, v40
	;; [unrolled: 5-line block ×3, first 2 shown]
	v_add_f16_e32 v38, v6, v5
	v_mul_f16_e32 v39, 0xb853, v79
	v_sub_f16_e32 v80, v30, v7
	v_add_f16_e32 v3, v3, v1
	v_fma_f16 v1, v38, s6, -v39
	v_add_f16_e32 v42, v24, v21
	v_mul_f16_e32 v43, 0xbb47, v80
	v_sub_f16_e32 v81, v29, v25
	v_add_f16_e32 v1, v1, v10
	v_fma_f16 v4, v42, s7, -v43
	;; [unrolled: 5-line block ×4, first 2 shown]
	v_add_f16_e32 v50, v20, v17
	v_mul_f16_e32 v51, 0xb482, v83
	v_add_f16_e32 v1, v4, v1
	v_fma_f16 v4, v50, s12, -v51
	v_add_f16_e32 v4, v4, v1
	v_mul_f16_e32 v1, v4, v2
	v_mul_f16_e32 v2, v3, v2
	v_fma_f16 v1, v3, v34, -v1
	v_fma_f16 v2, v4, v34, v2
	s_waitcnt lgkmcnt(2)
	v_lshrrev_b32_e32 v3, 16, v53
	s_waitcnt lgkmcnt(1)
	v_mul_f16_sdwa v34, v53, v54 dst_sel:DWORD dst_unused:UNUSED_PAD src0_sel:DWORD src1_sel:WORD_1
	v_mul_f16_sdwa v4, v3, v54 dst_sel:DWORD dst_unused:UNUSED_PAD src0_sel:DWORD src1_sel:WORD_1
	v_fma_f16 v3, v3, v54, v34
	v_fma_f16 v4, v53, v54, -v4
	v_mul_f16_sdwa v34, v3, v37 dst_sel:DWORD dst_unused:UNUSED_PAD src0_sel:DWORD src1_sel:WORD_1
	v_fma_f16 v34, v37, v4, -v34
	v_mul_f16_sdwa v4, v4, v37 dst_sel:DWORD dst_unused:UNUSED_PAD src0_sel:DWORD src1_sel:WORD_1
	v_mul_f16_e32 v54, 0xbb47, v76
	v_fma_f16 v4, v37, v3, v4
	v_fma_f16 v3, v33, s7, v54
	v_mul_f16_e32 v57, 0xba0c, v65
	v_add_f16_sdwa v3, v3, v10 dst_sel:DWORD dst_unused:UNUSED_PAD src0_sel:DWORD src1_sel:WORD_1
	v_fma_f16 v37, v31, s11, v57
	v_mul_f16_e32 v55, 0x3482, v64
	v_add_f16_e32 v3, v37, v3
	v_fma_f16 v37, v36, s12, v55
	v_mul_f16_e32 v56, 0x3beb, v77
	v_add_f16_e32 v3, v37, v3
	;; [unrolled: 3-line block ×4, first 2 shown]
	v_fma_f16 v3, v38, s7, -v59
	v_mul_f16_e32 v62, 0xba0c, v80
	v_add_f16_e32 v3, v3, v10
	v_fma_f16 v53, v42, s11, -v62
	v_mul_f16_e32 v60, 0x3482, v81
	v_add_f16_e32 v3, v53, v3
	;; [unrolled: 3-line block ×4, first 2 shown]
	v_fma_f16 v53, v50, s6, -v63
	v_add_f16_e32 v53, v53, v3
	v_mul_f16_e32 v3, v53, v4
	v_mul_f16_e32 v4, v37, v4
	v_fma_f16 v3, v37, v34, -v3
	v_fma_f16 v4, v53, v34, v4
	v_and_b32_e32 v34, 31, v52
	v_lshrrev_b32_e32 v37, 3, v52
	v_add_u32_e32 v52, v52, v16
	v_add_u32_e32 v85, v52, v16
	v_and_b32_e32 v37, 0x7c, v37
	v_lshrrev_b32_e32 v67, 3, v52
	v_lshrrev_b32_e32 v68, 3, v85
	v_lshl_add_u32 v34, v34, 2, 0
	v_add_u32_e32 v37, s0, v37
	v_and_b32_e32 v67, 0x7c, v67
	v_and_b32_e32 v68, 0x7c, v68
	ds_read_b32 v34, v34 offset:5324
	ds_read_b32 v37, v37 offset:128
	v_add_u32_e32 v67, s0, v67
	v_add_u32_e32 v68, s0, v68
	ds_read_b32 v84, v67 offset:128
	ds_read_b32 v86, v68 offset:128
	v_lshrrev_b32_e32 v67, 8, v52
	v_and_b32_e32 v53, 31, v52
	v_and_b32_e32 v67, 0x7c, v67
	;; [unrolled: 1-line block ×3, first 2 shown]
	v_lshrrev_b32_e32 v68, 8, v85
	v_lshl_add_u32 v53, v53, 2, 0
	v_add_u32_e32 v67, s0, v67
	v_lshl_add_u32 v52, v52, 2, 0
	v_and_b32_e32 v68, 0x7c, v68
	v_add_u32_e32 v68, s0, v68
	ds_read_b32 v87, v52 offset:5324
	ds_read_b32 v88, v68 offset:256
	;; [unrolled: 1-line block ×4, first 2 shown]
	s_waitcnt lgkmcnt(7)
	v_lshrrev_b32_e32 v67, 16, v34
	s_waitcnt lgkmcnt(6)
	v_mul_f16_sdwa v68, v67, v37 dst_sel:DWORD dst_unused:UNUSED_PAD src0_sel:DWORD src1_sel:WORD_1
	v_fma_f16 v68, v34, v37, -v68
	v_mul_f16_sdwa v34, v34, v37 dst_sel:DWORD dst_unused:UNUSED_PAD src0_sel:DWORD src1_sel:WORD_1
	v_fma_f16 v34, v67, v37, v34
	v_mul_f16_sdwa v37, v34, v66 dst_sel:DWORD dst_unused:UNUSED_PAD src0_sel:DWORD src1_sel:WORD_1
	v_mul_f16_sdwa v67, v68, v66 dst_sel:DWORD dst_unused:UNUSED_PAD src0_sel:DWORD src1_sel:WORD_1
	v_fma_f16 v37, v66, v68, -v37
	v_fma_f16 v89, v66, v34, v67
	v_mul_f16_e32 v66, 0xbbeb, v76
	v_fma_f16 v34, v33, s10, v66
	v_mul_f16_e32 v69, 0x3482, v65
	v_add_f16_sdwa v34, v34, v10 dst_sel:DWORD dst_unused:UNUSED_PAD src0_sel:DWORD src1_sel:WORD_1
	v_fma_f16 v67, v31, s12, v69
	v_add_f16_e32 v34, v67, v34
	v_mul_f16_e32 v67, 0x3b47, v64
	v_fma_f16 v68, v36, s7, v67
	v_add_f16_e32 v34, v68, v34
	v_mul_f16_e32 v68, 0xb853, v77
	;; [unrolled: 3-line block ×4, first 2 shown]
	v_fma_f16 v34, v38, s10, -v71
	v_mul_f16_e32 v74, 0x3482, v80
	v_add_f16_e32 v34, v34, v10
	v_fma_f16 v72, v42, s12, -v74
	v_add_f16_e32 v34, v72, v34
	v_mul_f16_e32 v72, 0x3b47, v81
	v_fma_f16 v73, v46, s7, -v72
	v_add_f16_e32 v34, v73, v34
	v_mul_f16_e32 v73, 0xb853, v82
	;; [unrolled: 3-line block ×4, first 2 shown]
	v_mul_f16_e32 v89, v90, v89
	v_fma_f16 v34, v90, v37, -v34
	v_fma_f16 v37, v91, v37, v89
	s_waitcnt lgkmcnt(1)
	v_lshrrev_b32_e32 v89, 16, v52
	v_mul_f16_sdwa v90, v89, v84 dst_sel:DWORD dst_unused:UNUSED_PAD src0_sel:DWORD src1_sel:WORD_1
	v_fma_f16 v90, v52, v84, -v90
	v_mul_f16_sdwa v52, v52, v84 dst_sel:DWORD dst_unused:UNUSED_PAD src0_sel:DWORD src1_sel:WORD_1
	v_fma_f16 v52, v89, v84, v52
	s_waitcnt lgkmcnt(0)
	v_mul_f16_sdwa v84, v52, v53 dst_sel:DWORD dst_unused:UNUSED_PAD src0_sel:DWORD src1_sel:WORD_1
	v_mul_f16_sdwa v89, v90, v53 dst_sel:DWORD dst_unused:UNUSED_PAD src0_sel:DWORD src1_sel:WORD_1
	v_fma_f16 v84, v53, v90, -v84
	v_fma_f16 v53, v53, v52, v89
	v_mul_f16_e32 v89, 0xba0c, v76
	v_fma_f16 v52, v33, s11, v89
	v_mul_f16_e32 v90, 0x3beb, v65
	v_add_f16_sdwa v52, v52, v10 dst_sel:DWORD dst_unused:UNUSED_PAD src0_sel:DWORD src1_sel:WORD_1
	v_fma_f16 v91, v31, s10, v90
	v_add_f16_e32 v52, v91, v52
	v_mul_f16_e32 v91, 0xb853, v64
	v_fma_f16 v92, v36, s6, v91
	v_add_f16_e32 v52, v92, v52
	v_mul_f16_e32 v92, 0xb482, v77
	;; [unrolled: 3-line block ×3, first 2 shown]
	v_fma_f16 v94, v45, s7, v93
	v_mul_f16_e32 v95, 0xba0c, v79
	v_add_f16_e32 v94, v94, v52
	v_fma_f16 v52, v38, s11, -v95
	v_mul_f16_e32 v96, 0x3beb, v80
	v_add_f16_e32 v52, v52, v10
	v_fma_f16 v97, v42, s10, -v96
	v_add_f16_e32 v52, v97, v52
	v_mul_f16_e32 v97, 0xb853, v81
	v_fma_f16 v98, v46, s6, -v97
	v_add_f16_e32 v52, v98, v52
	v_mul_f16_e32 v98, 0xb482, v82
	;; [unrolled: 3-line block ×4, first 2 shown]
	v_mul_f16_e32 v53, v94, v53
	v_fma_f16 v52, v94, v84, -v52
	v_fma_f16 v53, v100, v84, v53
	v_lshrrev_b32_e32 v84, 16, v87
	v_mul_f16_sdwa v94, v84, v86 dst_sel:DWORD dst_unused:UNUSED_PAD src0_sel:DWORD src1_sel:WORD_1
	v_fma_f16 v94, v87, v86, -v94
	v_mul_f16_sdwa v87, v87, v86 dst_sel:DWORD dst_unused:UNUSED_PAD src0_sel:DWORD src1_sel:WORD_1
	v_fma_f16 v84, v84, v86, v87
	v_mul_f16_sdwa v87, v94, v88 dst_sel:DWORD dst_unused:UNUSED_PAD src0_sel:DWORD src1_sel:WORD_1
	v_mul_f16_e32 v76, 0xb482, v76
	v_mul_f16_sdwa v86, v84, v88 dst_sel:DWORD dst_unused:UNUSED_PAD src0_sel:DWORD src1_sel:WORD_1
	v_fma_f16 v84, v88, v84, v87
	v_mul_f16_e32 v87, 0x3853, v65
	v_fma_f16 v65, v33, s12, v76
	v_fma_f16 v86, v88, v94, -v86
	v_add_f16_sdwa v65, v65, v10 dst_sel:DWORD dst_unused:UNUSED_PAD src0_sel:DWORD src1_sel:WORD_1
	v_fma_f16 v88, v31, s6, v87
	v_add_f16_e32 v65, v88, v65
	v_mul_f16_e32 v88, 0xba0c, v64
	v_fma_f16 v64, v36, s11, v88
	v_mul_f16_e32 v77, 0x3b47, v77
	v_add_f16_e32 v64, v64, v65
	v_fma_f16 v65, v41, s7, v77
	v_mul_f16_e32 v78, 0xbbeb, v78
	v_add_f16_e32 v64, v65, v64
	;; [unrolled: 3-line block ×3, first 2 shown]
	v_mul_f16_e32 v80, 0x3853, v80
	v_fma_f16 v64, v38, s12, -v79
	v_add_f16_e32 v64, v64, v10
	v_fma_f16 v94, v42, s6, -v80
	v_mul_f16_e32 v81, 0xba0c, v81
	v_add_f16_e32 v64, v94, v64
	v_fma_f16 v94, v46, s11, -v81
	v_mul_f16_e32 v82, 0x3b47, v82
	;; [unrolled: 3-line block ×3, first 2 shown]
	v_add_f16_e32 v64, v94, v64
	v_fma_f16 v94, v50, s10, -v83
	v_add_f16_e32 v94, v94, v64
	v_mul_f16_e32 v64, v94, v84
	v_fma_f16 v64, v65, v86, -v64
	v_mul_f16_e32 v65, v65, v84
	v_add_u32_e32 v84, v85, v16
	v_fma_f16 v65, v94, v86, v65
	v_and_b32_e32 v85, 31, v84
	v_lshrrev_b32_e32 v86, 3, v84
	v_lshrrev_b32_e32 v94, 8, v84
	v_add_u32_e32 v84, v84, v16
	v_and_b32_e32 v86, 0x7c, v86
	v_and_b32_e32 v100, 31, v84
	v_lshrrev_b32_e32 v101, 3, v84
	v_lshrrev_b32_e32 v102, 8, v84
	v_add_u32_e32 v84, v84, v16
	v_lshl_add_u32 v85, v85, 2, 0
	v_add_u32_e32 v86, s0, v86
	v_lshrrev_b32_e32 v104, 8, v84
	v_fma_f16 v76, v33, s12, -v76
	ds_read_b32 v85, v85 offset:5324
	ds_read_b32 v86, v86 offset:128
	v_and_b32_e32 v94, 0x7c, v94
	v_and_b32_e32 v101, 0x7c, v101
	;; [unrolled: 1-line block ×5, first 2 shown]
	v_fma_f16 v87, v31, s6, -v87
	v_add_f16_sdwa v76, v76, v10 dst_sel:DWORD dst_unused:UNUSED_PAD src0_sel:DWORD src1_sel:WORD_1
	v_add_u32_e32 v94, s0, v94
	v_lshl_add_u32 v100, v100, 2, 0
	v_add_u32_e32 v101, s0, v101
	v_add_u32_e32 v102, s0, v102
	v_lshl_add_u32 v103, v103, 2, 0
	v_add_u32_e32 v104, s0, v104
	v_add_f16_e32 v76, v87, v76
	v_fma_f16 v87, v36, s11, -v88
	ds_read_b32 v101, v101 offset:128
	ds_read_b32 v103, v103 offset:5324
	;; [unrolled: 1-line block ×6, first 2 shown]
	v_add_f16_e32 v76, v87, v76
	v_fma_f16 v77, v41, s7, -v77
	v_add_f16_e32 v76, v77, v76
	v_fma_f16 v77, v45, s10, -v78
	v_fma_f16 v78, v38, s12, v79
	s_waitcnt lgkmcnt(7)
	v_lshrrev_b32_e32 v105, 16, v85
	v_add_f16_e32 v76, v77, v76
	v_fma_f16 v77, v42, s6, v80
	v_add_f16_e32 v78, v78, v10
	s_waitcnt lgkmcnt(6)
	v_mul_f16_sdwa v106, v105, v86 dst_sel:DWORD dst_unused:UNUSED_PAD src0_sel:DWORD src1_sel:WORD_1
	v_add_f16_e32 v77, v77, v78
	v_fma_f16 v78, v46, s11, v81
	v_fma_f16 v106, v85, v86, -v106
	v_mul_f16_sdwa v85, v85, v86 dst_sel:DWORD dst_unused:UNUSED_PAD src0_sel:DWORD src1_sel:WORD_1
	v_add_f16_e32 v77, v78, v77
	v_fma_f16 v78, v48, s7, v82
	v_fma_f16 v85, v105, v86, v85
	s_waitcnt lgkmcnt(0)
	v_mul_f16_sdwa v105, v106, v94 dst_sel:DWORD dst_unused:UNUSED_PAD src0_sel:DWORD src1_sel:WORD_1
	v_add_f16_e32 v77, v78, v77
	v_fma_f16 v78, v50, s10, v83
	v_mul_f16_sdwa v86, v85, v94 dst_sel:DWORD dst_unused:UNUSED_PAD src0_sel:DWORD src1_sel:WORD_1
	v_fma_f16 v85, v94, v85, v105
	v_add_f16_e32 v77, v78, v77
	v_fma_f16 v86, v94, v106, -v86
	v_mul_f16_e32 v78, v77, v85
	v_fma_f16 v78, v76, v86, -v78
	v_mul_f16_e32 v76, v76, v85
	v_fma_f16 v76, v77, v86, v76
	v_lshrrev_b32_e32 v77, 16, v100
	v_mul_f16_sdwa v80, v100, v101 dst_sel:DWORD dst_unused:UNUSED_PAD src0_sel:DWORD src1_sel:WORD_1
	v_mul_f16_sdwa v79, v77, v101 dst_sel:DWORD dst_unused:UNUSED_PAD src0_sel:DWORD src1_sel:WORD_1
	v_fma_f16 v77, v77, v101, v80
	v_fma_f16 v79, v100, v101, -v79
	v_mul_f16_sdwa v80, v77, v102 dst_sel:DWORD dst_unused:UNUSED_PAD src0_sel:DWORD src1_sel:WORD_1
	v_fma_f16 v80, v102, v79, -v80
	v_mul_f16_sdwa v79, v79, v102 dst_sel:DWORD dst_unused:UNUSED_PAD src0_sel:DWORD src1_sel:WORD_1
	v_fma_f16 v81, v33, s11, -v89
	v_fma_f16 v77, v102, v77, v79
	v_fma_f16 v79, v31, s10, -v90
	v_add_f16_sdwa v81, v81, v10 dst_sel:DWORD dst_unused:UNUSED_PAD src0_sel:DWORD src1_sel:WORD_1
	v_add_f16_e32 v79, v79, v81
	v_fma_f16 v81, v36, s6, -v91
	v_add_f16_e32 v79, v81, v79
	v_fma_f16 v81, v41, s12, -v92
	;; [unrolled: 2-line block ×3, first 2 shown]
	v_fma_f16 v82, v38, s11, v95
	v_add_f16_e32 v79, v81, v79
	v_fma_f16 v81, v42, s10, v96
	v_add_f16_e32 v82, v82, v10
	v_add_f16_e32 v81, v81, v82
	v_fma_f16 v82, v46, s6, v97
	v_add_f16_e32 v81, v82, v81
	v_fma_f16 v82, v48, s12, v98
	;; [unrolled: 2-line block ×3, first 2 shown]
	v_add_f16_e32 v81, v82, v81
	v_mul_f16_e32 v82, v81, v77
	v_fma_f16 v82, v79, v80, -v82
	v_mul_f16_e32 v77, v79, v77
	v_lshrrev_b32_e32 v79, 3, v84
	v_and_b32_e32 v79, 0x7c, v79
	v_add_u32_e32 v79, s0, v79
	ds_read_b32 v79, v79 offset:128
	v_fma_f16 v66, v33, s10, -v66
	v_fma_f16 v69, v31, s12, -v69
	v_add_f16_sdwa v66, v66, v10 dst_sel:DWORD dst_unused:UNUSED_PAD src0_sel:DWORD src1_sel:WORD_1
	v_add_f16_e32 v66, v69, v66
	v_fma_f16 v67, v36, s7, -v67
	v_fma_f16 v77, v81, v80, v77
	v_add_u32_e32 v81, v84, v16
	v_add_f16_e32 v66, v67, v66
	v_fma_f16 v67, v41, s6, -v68
	v_lshrrev_b32_e32 v80, 16, v103
	v_add_u32_e32 v16, v81, v16
	v_add_f16_e32 v66, v67, v66
	v_fma_f16 v67, v45, s11, -v70
	v_fma_f16 v68, v38, s10, v71
	v_and_b32_e32 v83, 31, v81
	v_lshrrev_b32_e32 v84, 3, v81
	v_lshrrev_b32_e32 v85, 8, v81
	;; [unrolled: 1-line block ×3, first 2 shown]
	v_and_b32_e32 v86, 31, v16
	v_lshrrev_b32_e32 v16, 3, v16
	v_lshrrev_b32_e32 v87, 8, v9
	s_waitcnt lgkmcnt(0)
	v_mul_f16_sdwa v88, v80, v79 dst_sel:DWORD dst_unused:UNUSED_PAD src0_sel:DWORD src1_sel:WORD_1
	v_mul_f16_sdwa v89, v103, v79 dst_sel:DWORD dst_unused:UNUSED_PAD src0_sel:DWORD src1_sel:WORD_1
	v_add_f16_e32 v66, v67, v66
	v_fma_f16 v67, v42, s12, v74
	v_add_f16_e32 v68, v68, v10
	v_and_b32_e32 v84, 0x7c, v84
	v_and_b32_e32 v85, 0x7c, v85
	;; [unrolled: 1-line block ×5, first 2 shown]
	v_fma_f16 v88, v103, v79, -v88
	v_fma_f16 v79, v80, v79, v89
	v_add_f16_e32 v67, v67, v68
	v_fma_f16 v68, v46, s7, v72
	v_lshl_add_u32 v83, v83, 2, 0
	v_add_u32_e32 v84, s0, v84
	v_add_u32_e32 v85, s0, v85
	;; [unrolled: 1-line block ×3, first 2 shown]
	v_lshl_add_u32 v86, v86, 2, 0
	v_add_u32_e32 v16, s0, v16
	v_add_u32_e32 v87, s0, v87
	v_mul_f16_sdwa v80, v79, v104 dst_sel:DWORD dst_unused:UNUSED_PAD src0_sel:DWORD src1_sel:WORD_1
	v_add_f16_e32 v67, v68, v67
	v_fma_f16 v68, v48, s6, v73
	v_fma_f16 v54, v33, s7, -v54
	ds_read_b32 v84, v84 offset:128
	ds_read_b32 v81, v81 offset:256
	;; [unrolled: 1-line block ×7, first 2 shown]
	v_fma_f16 v80, v104, v88, -v80
	v_mul_f16_sdwa v88, v88, v104 dst_sel:DWORD dst_unused:UNUSED_PAD src0_sel:DWORD src1_sel:WORD_1
	v_add_f16_e32 v67, v68, v67
	v_fma_f16 v68, v50, s11, v75
	v_fma_f16 v57, v31, s11, -v57
	v_add_f16_sdwa v54, v54, v10 dst_sel:DWORD dst_unused:UNUSED_PAD src0_sel:DWORD src1_sel:WORD_1
	v_fma_f16 v79, v104, v79, v88
	v_add_f16_e32 v67, v68, v67
	v_add_f16_e32 v54, v57, v54
	v_fma_f16 v55, v36, s12, -v55
	v_mul_f16_e32 v68, v67, v79
	v_add_f16_e32 v54, v55, v54
	v_fma_f16 v55, v41, s10, -v56
	v_fma_f16 v68, v66, v80, -v68
	v_mul_f16_e32 v66, v66, v79
	v_add_f16_e32 v54, v55, v54
	v_fma_f16 v55, v45, s6, -v58
	v_fma_f16 v56, v38, s7, v59
	v_add_f16_sdwa v11, v11, v10 dst_sel:DWORD dst_unused:UNUSED_PAD src0_sel:DWORD src1_sel:WORD_1
	v_fma_f16 v66, v67, v80, v66
	s_waitcnt lgkmcnt(1)
	v_lshrrev_b32_e32 v67, 16, v83
	v_mul_f16_sdwa v70, v83, v84 dst_sel:DWORD dst_unused:UNUSED_PAD src0_sel:DWORD src1_sel:WORD_1
	v_add_f16_e32 v54, v55, v54
	v_fma_f16 v55, v42, s11, v62
	v_add_f16_e32 v56, v56, v10
	v_add_f16_e32 v11, v11, v30
	v_mul_f16_sdwa v69, v67, v84 dst_sel:DWORD dst_unused:UNUSED_PAD src0_sel:DWORD src1_sel:WORD_1
	v_fma_f16 v67, v67, v84, v70
	v_add_f16_e32 v55, v55, v56
	v_fma_f16 v56, v46, s12, v60
	v_add_f16_e32 v11, v11, v29
	v_fma_f16 v69, v83, v84, -v69
	s_waitcnt lgkmcnt(0)
	v_mul_f16_sdwa v70, v67, v85 dst_sel:DWORD dst_unused:UNUSED_PAD src0_sel:DWORD src1_sel:WORD_1
	v_add_f16_e32 v55, v56, v55
	v_fma_f16 v56, v48, s10, v61
	v_add_f16_e32 v8, v11, v8
	v_and_b32_e32 v11, 31, v9
	v_lshrrev_b32_e32 v9, 3, v9
	v_fma_f16 v70, v85, v69, -v70
	v_mul_f16_sdwa v69, v69, v85 dst_sel:DWORD dst_unused:UNUSED_PAD src0_sel:DWORD src1_sel:WORD_1
	v_add_f16_e32 v55, v56, v55
	v_fma_f16 v56, v50, s6, v63
	v_and_b32_e32 v9, 0x7c, v9
	v_add_f16_e32 v6, v6, v10
	v_fma_f16 v67, v85, v67, v69
	v_add_f16_e32 v55, v56, v55
	v_add_f16_e32 v8, v8, v28
	v_lshl_add_u32 v11, v11, 2, 0
	v_add_u32_e32 v9, s0, v9
	v_add_f16_e32 v6, v6, v24
	v_mul_f16_e32 v56, v55, v67
	v_fma_f16 v13, v33, s6, -v13
	v_add_f16_e32 v8, v8, v26
	ds_read_b32 v11, v11 offset:5324
	ds_read_b32 v9, v9 offset:128
	v_add_f16_e32 v6, v6, v23
	v_fma_f16 v56, v54, v70, -v56
	v_mul_f16_e32 v54, v54, v67
	v_fma_f16 v31, v31, s7, -v32
	v_add_f16_sdwa v13, v13, v10 dst_sel:DWORD dst_unused:UNUSED_PAD src0_sel:DWORD src1_sel:WORD_1
	v_add_f16_e32 v8, v8, v27
	v_add_f16_e32 v6, v6, v22
	v_fma_f16 v54, v55, v70, v54
	v_lshrrev_b32_e32 v55, 16, v86
	v_fma_f16 v35, v36, s10, -v35
	v_add_f16_e32 v13, v31, v13
	v_fma_f16 v36, v38, s6, v39
	v_add_f16_e32 v8, v8, v25
	v_add_f16_e32 v6, v6, v20
	v_mul_f16_sdwa v57, v55, v16 dst_sel:DWORD dst_unused:UNUSED_PAD src0_sel:DWORD src1_sel:WORD_1
	v_mul_f16_sdwa v58, v86, v16 dst_sel:DWORD dst_unused:UNUSED_PAD src0_sel:DWORD src1_sel:WORD_1
	v_add_f16_e32 v13, v35, v13
	v_fma_f16 v35, v42, s7, v43
	v_add_f16_e32 v36, v36, v10
	v_add_f16_e32 v7, v8, v7
	;; [unrolled: 1-line block ×3, first 2 shown]
	v_fma_f16 v57, v86, v16, -v57
	v_fma_f16 v16, v55, v16, v58
	v_fma_f16 v33, v46, s10, v47
	v_add_f16_e32 v35, v35, v36
	v_add_f16_e32 v12, v7, v12
	s_waitcnt lgkmcnt(1)
	v_lshrrev_b32_e32 v7, 16, v11
	v_add_f16_e32 v6, v6, v18
	v_mul_f16_sdwa v55, v16, v81 dst_sel:DWORD dst_unused:UNUSED_PAD src0_sel:DWORD src1_sel:WORD_1
	v_fma_f16 v32, v48, s11, v49
	v_add_f16_e32 v33, v33, v35
	s_waitcnt lgkmcnt(0)
	v_mul_f16_sdwa v8, v7, v9 dst_sel:DWORD dst_unused:UNUSED_PAD src0_sel:DWORD src1_sel:WORD_1
	v_add_f16_e32 v6, v6, v19
	v_fma_f16 v55, v81, v57, -v55
	v_mul_f16_sdwa v57, v57, v81 dst_sel:DWORD dst_unused:UNUSED_PAD src0_sel:DWORD src1_sel:WORD_1
	v_fma_f16 v40, v41, s11, -v40
	v_fma_f16 v31, v50, s12, v51
	v_add_f16_e32 v32, v32, v33
	v_fma_f16 v8, v11, v9, -v8
	v_mul_f16_sdwa v11, v11, v9 dst_sel:DWORD dst_unused:UNUSED_PAD src0_sel:DWORD src1_sel:WORD_1
	v_add_f16_e32 v6, v6, v21
	v_fma_f16 v16, v81, v16, v57
	v_fma_f16 v44, v45, s12, -v44
	v_add_f16_e32 v13, v40, v13
	v_add_f16_e32 v31, v31, v32
	v_fma_f16 v7, v7, v9, v11
	v_add_f16_e32 v17, v6, v5
	v_mul_f16_sdwa v5, v8, v87 dst_sel:DWORD dst_unused:UNUSED_PAD src0_sel:DWORD src1_sel:WORD_1
	s_mov_b32 s0, 0x21d9eae
	v_add_f16_e32 v13, v44, v13
	v_mul_f16_e32 v32, v31, v16
	v_mul_f16_sdwa v9, v7, v87 dst_sel:DWORD dst_unused:UNUSED_PAD src0_sel:DWORD src1_sel:WORD_1
	v_fma_f16 v18, v87, v7, v5
	v_mul_hi_u32 v0, v0, s0
	v_fma_f16 v32, v13, v55, -v32
	v_mul_f16_e32 v13, v13, v16
	v_fma_f16 v16, v87, v8, -v9
	v_mul_f16_e32 v5, v17, v18
	v_fma_f16 v19, v12, v16, -v5
	v_mad_u64_u32 v[5:6], s[0:1], s18, v14, 0
	s_movk_i32 s0, 0x79
	v_mad_u32_u24 v15, v0, s0, v15
	v_mad_u64_u32 v[7:8], s[0:1], s16, v15, 0
	v_mov_b32_e32 v0, v6
	v_mad_u64_u32 v[9:10], s[0:1], s19, v14, v[0:1]
	v_mov_b32_e32 v0, v8
	;; [unrolled: 2-line block ×3, first 2 shown]
	s_lshl_b64 s[0:1], s[4:5], 2
	s_add_u32 s0, s2, s0
	v_lshlrev_b64 v[5:6], 2, v[5:6]
	s_addc_u32 s1, s3, s1
	v_mov_b32_e32 v9, s1
	v_add_co_u32_e32 v11, vcc, s0, v5
	v_mul_f16_e32 v0, v12, v18
	v_mov_b32_e32 v8, v10
	v_addc_co_u32_e32 v12, vcc, v9, v6, vcc
	v_add_u32_e32 v9, 11, v15
	v_lshlrev_b64 v[5:6], 2, v[7:8]
	v_mad_u64_u32 v[7:8], s[0:1], s16, v9, 0
	v_fma_f16 v0, v17, v16, v0
	v_pack_b32_f16 v14, v0, v19
	v_mov_b32_e32 v0, v8
	v_mad_u64_u32 v[8:9], s[0:1], s17, v9, v[0:1]
	v_add_u32_e32 v16, 22, v15
	v_mad_u64_u32 v[9:10], s[0:1], s16, v16, 0
	v_add_co_u32_e32 v5, vcc, v11, v5
	v_addc_co_u32_e32 v6, vcc, v12, v6, vcc
	v_mov_b32_e32 v0, v10
	global_store_dword v[5:6], v14, off
	v_lshlrev_b64 v[5:6], 2, v[7:8]
	v_mad_u64_u32 v[7:8], s[0:1], s17, v16, v[0:1]
	v_fma_f16 v13, v31, v55, v13
	v_add_co_u32_e32 v5, vcc, v11, v5
	v_addc_co_u32_e32 v6, vcc, v12, v6, vcc
	v_pack_b32_f16 v0, v13, v32
	v_mov_b32_e32 v10, v7
	global_store_dword v[5:6], v0, off
	v_lshlrev_b64 v[5:6], 2, v[9:10]
	v_add_u32_e32 v9, 33, v15
	v_mad_u64_u32 v[7:8], s[0:1], s16, v9, 0
	v_add_u32_e32 v14, 44, v15
	v_add_co_u32_e32 v5, vcc, v11, v5
	v_mov_b32_e32 v0, v8
	v_mad_u64_u32 v[8:9], s[0:1], s17, v9, v[0:1]
	v_mad_u64_u32 v[9:10], s[0:1], s16, v14, 0
	v_addc_co_u32_e32 v6, vcc, v12, v6, vcc
	v_pack_b32_f16 v13, v54, v56
	v_mov_b32_e32 v0, v10
	global_store_dword v[5:6], v13, off
	v_lshlrev_b64 v[5:6], 2, v[7:8]
	v_mad_u64_u32 v[7:8], s[0:1], s17, v14, v[0:1]
	v_add_co_u32_e32 v5, vcc, v11, v5
	v_addc_co_u32_e32 v6, vcc, v12, v6, vcc
	v_pack_b32_f16 v0, v66, v68
	v_mov_b32_e32 v10, v7
	global_store_dword v[5:6], v0, off
	v_lshlrev_b64 v[5:6], 2, v[9:10]
	v_add_u32_e32 v9, 55, v15
	v_mad_u64_u32 v[7:8], s[0:1], s16, v9, 0
	v_add_u32_e32 v14, 0x42, v15
	v_add_co_u32_e32 v5, vcc, v11, v5
	v_mov_b32_e32 v0, v8
	v_mad_u64_u32 v[8:9], s[0:1], s17, v9, v[0:1]
	v_mad_u64_u32 v[9:10], s[0:1], s16, v14, 0
	v_addc_co_u32_e32 v6, vcc, v12, v6, vcc
	v_pack_b32_f16 v13, v77, v82
	v_mov_b32_e32 v0, v10
	global_store_dword v[5:6], v13, off
	v_lshlrev_b64 v[5:6], 2, v[7:8]
	v_mad_u64_u32 v[7:8], s[0:1], s17, v14, v[0:1]
	;; [unrolled: 19-line block ×4, first 2 shown]
	v_add_co_u32_e32 v5, vcc, v11, v5
	v_mov_b32_e32 v10, v7
	v_pack_b32_f16 v0, v4, v3
	v_lshlrev_b64 v[3:4], 2, v[9:10]
	v_addc_co_u32_e32 v6, vcc, v12, v6, vcc
	v_add_co_u32_e32 v3, vcc, v11, v3
	global_store_dword v[5:6], v0, off
	v_addc_co_u32_e32 v4, vcc, v12, v4, vcc
	v_pack_b32_f16 v0, v2, v1
	global_store_dword v[3:4], v0, off
.LBB0_18:
	s_endpgm
	.section	.rodata,"a",@progbits
	.p2align	6, 0x0
	.amdhsa_kernel fft_rtc_back_len121_factors_11_11_wgs_121_tpt_11_half_ip_CI_sbcc_twdbase5_3step_dirReg
		.amdhsa_group_segment_fixed_size 0
		.amdhsa_private_segment_fixed_size 0
		.amdhsa_kernarg_size 96
		.amdhsa_user_sgpr_count 6
		.amdhsa_user_sgpr_private_segment_buffer 1
		.amdhsa_user_sgpr_dispatch_ptr 0
		.amdhsa_user_sgpr_queue_ptr 0
		.amdhsa_user_sgpr_kernarg_segment_ptr 1
		.amdhsa_user_sgpr_dispatch_id 0
		.amdhsa_user_sgpr_flat_scratch_init 0
		.amdhsa_user_sgpr_private_segment_size 0
		.amdhsa_uses_dynamic_stack 0
		.amdhsa_system_sgpr_private_segment_wavefront_offset 0
		.amdhsa_system_sgpr_workgroup_id_x 1
		.amdhsa_system_sgpr_workgroup_id_y 0
		.amdhsa_system_sgpr_workgroup_id_z 0
		.amdhsa_system_sgpr_workgroup_info 0
		.amdhsa_system_vgpr_workitem_id 0
		.amdhsa_next_free_vgpr 107
		.amdhsa_next_free_sgpr 43
		.amdhsa_reserve_vcc 1
		.amdhsa_reserve_flat_scratch 0
		.amdhsa_float_round_mode_32 0
		.amdhsa_float_round_mode_16_64 0
		.amdhsa_float_denorm_mode_32 3
		.amdhsa_float_denorm_mode_16_64 3
		.amdhsa_dx10_clamp 1
		.amdhsa_ieee_mode 1
		.amdhsa_fp16_overflow 0
		.amdhsa_exception_fp_ieee_invalid_op 0
		.amdhsa_exception_fp_denorm_src 0
		.amdhsa_exception_fp_ieee_div_zero 0
		.amdhsa_exception_fp_ieee_overflow 0
		.amdhsa_exception_fp_ieee_underflow 0
		.amdhsa_exception_fp_ieee_inexact 0
		.amdhsa_exception_int_div_zero 0
	.end_amdhsa_kernel
	.text
.Lfunc_end0:
	.size	fft_rtc_back_len121_factors_11_11_wgs_121_tpt_11_half_ip_CI_sbcc_twdbase5_3step_dirReg, .Lfunc_end0-fft_rtc_back_len121_factors_11_11_wgs_121_tpt_11_half_ip_CI_sbcc_twdbase5_3step_dirReg
                                        ; -- End function
	.section	.AMDGPU.csdata,"",@progbits
; Kernel info:
; codeLenInByte = 9280
; NumSgprs: 47
; NumVgprs: 107
; ScratchSize: 0
; MemoryBound: 0
; FloatMode: 240
; IeeeMode: 1
; LDSByteSize: 0 bytes/workgroup (compile time only)
; SGPRBlocks: 5
; VGPRBlocks: 26
; NumSGPRsForWavesPerEU: 47
; NumVGPRsForWavesPerEU: 107
; Occupancy: 2
; WaveLimiterHint : 1
; COMPUTE_PGM_RSRC2:SCRATCH_EN: 0
; COMPUTE_PGM_RSRC2:USER_SGPR: 6
; COMPUTE_PGM_RSRC2:TRAP_HANDLER: 0
; COMPUTE_PGM_RSRC2:TGID_X_EN: 1
; COMPUTE_PGM_RSRC2:TGID_Y_EN: 0
; COMPUTE_PGM_RSRC2:TGID_Z_EN: 0
; COMPUTE_PGM_RSRC2:TIDIG_COMP_CNT: 0
	.type	__hip_cuid_d4ae916f6517f5f3,@object ; @__hip_cuid_d4ae916f6517f5f3
	.section	.bss,"aw",@nobits
	.globl	__hip_cuid_d4ae916f6517f5f3
__hip_cuid_d4ae916f6517f5f3:
	.byte	0                               ; 0x0
	.size	__hip_cuid_d4ae916f6517f5f3, 1

	.ident	"AMD clang version 19.0.0git (https://github.com/RadeonOpenCompute/llvm-project roc-6.4.0 25133 c7fe45cf4b819c5991fe208aaa96edf142730f1d)"
	.section	".note.GNU-stack","",@progbits
	.addrsig
	.addrsig_sym __hip_cuid_d4ae916f6517f5f3
	.amdgpu_metadata
---
amdhsa.kernels:
  - .args:
      - .actual_access:  read_only
        .address_space:  global
        .offset:         0
        .size:           8
        .value_kind:     global_buffer
      - .address_space:  global
        .offset:         8
        .size:           8
        .value_kind:     global_buffer
      - .offset:         16
        .size:           8
        .value_kind:     by_value
      - .actual_access:  read_only
        .address_space:  global
        .offset:         24
        .size:           8
        .value_kind:     global_buffer
      - .actual_access:  read_only
        .address_space:  global
        .offset:         32
        .size:           8
        .value_kind:     global_buffer
      - .offset:         40
        .size:           8
        .value_kind:     by_value
      - .actual_access:  read_only
        .address_space:  global
        .offset:         48
        .size:           8
        .value_kind:     global_buffer
      - .actual_access:  read_only
        .address_space:  global
        .offset:         56
        .size:           8
        .value_kind:     global_buffer
      - .offset:         64
        .size:           4
        .value_kind:     by_value
      - .actual_access:  read_only
        .address_space:  global
        .offset:         72
        .size:           8
        .value_kind:     global_buffer
      - .actual_access:  read_only
        .address_space:  global
        .offset:         80
        .size:           8
        .value_kind:     global_buffer
      - .address_space:  global
        .offset:         88
        .size:           8
        .value_kind:     global_buffer
    .group_segment_fixed_size: 0
    .kernarg_segment_align: 8
    .kernarg_segment_size: 96
    .language:       OpenCL C
    .language_version:
      - 2
      - 0
    .max_flat_workgroup_size: 121
    .name:           fft_rtc_back_len121_factors_11_11_wgs_121_tpt_11_half_ip_CI_sbcc_twdbase5_3step_dirReg
    .private_segment_fixed_size: 0
    .sgpr_count:     47
    .sgpr_spill_count: 0
    .symbol:         fft_rtc_back_len121_factors_11_11_wgs_121_tpt_11_half_ip_CI_sbcc_twdbase5_3step_dirReg.kd
    .uniform_work_group_size: 1
    .uses_dynamic_stack: false
    .vgpr_count:     107
    .vgpr_spill_count: 0
    .wavefront_size: 64
amdhsa.target:   amdgcn-amd-amdhsa--gfx906
amdhsa.version:
  - 1
  - 2
...

	.end_amdgpu_metadata
